;; amdgpu-corpus repo=ROCm/rocFFT kind=compiled arch=gfx1201 opt=O3
	.text
	.amdgcn_target "amdgcn-amd-amdhsa--gfx1201"
	.amdhsa_code_object_version 6
	.protected	fft_rtc_fwd_len864_factors_3_6_16_3_wgs_54_tpt_54_halfLds_half_ip_CI_sbrr_dirReg ; -- Begin function fft_rtc_fwd_len864_factors_3_6_16_3_wgs_54_tpt_54_halfLds_half_ip_CI_sbrr_dirReg
	.globl	fft_rtc_fwd_len864_factors_3_6_16_3_wgs_54_tpt_54_halfLds_half_ip_CI_sbrr_dirReg
	.p2align	8
	.type	fft_rtc_fwd_len864_factors_3_6_16_3_wgs_54_tpt_54_halfLds_half_ip_CI_sbrr_dirReg,@function
fft_rtc_fwd_len864_factors_3_6_16_3_wgs_54_tpt_54_halfLds_half_ip_CI_sbrr_dirReg: ; @fft_rtc_fwd_len864_factors_3_6_16_3_wgs_54_tpt_54_halfLds_half_ip_CI_sbrr_dirReg
; %bb.0:
	s_clause 0x2
	s_load_b64 s[12:13], s[0:1], 0x18
	s_load_b128 s[4:7], s[0:1], 0x0
	s_load_b64 s[10:11], s[0:1], 0x50
	v_mul_u32_u24_e32 v1, 0x4be, v0
	v_mov_b32_e32 v3, 0
	s_delay_alu instid0(VALU_DEP_2) | instskip(NEXT) | instid1(VALU_DEP_1)
	v_lshrrev_b32_e32 v1, 16, v1
	v_add_nc_u32_e32 v5, ttmp9, v1
	v_mov_b32_e32 v1, 0
	v_mov_b32_e32 v2, 0
	;; [unrolled: 1-line block ×3, first 2 shown]
	s_wait_kmcnt 0x0
	s_load_b64 s[8:9], s[12:13], 0x0
	v_cmp_lt_u64_e64 s2, s[6:7], 2
	s_delay_alu instid0(VALU_DEP_1)
	s_and_b32 vcc_lo, exec_lo, s2
	s_cbranch_vccnz .LBB0_8
; %bb.1:
	s_load_b64 s[2:3], s[0:1], 0x10
	v_mov_b32_e32 v1, 0
	v_mov_b32_e32 v2, 0
	s_add_nc_u64 s[14:15], s[12:13], 8
	s_mov_b64 s[16:17], 1
	s_wait_kmcnt 0x0
	s_add_nc_u64 s[18:19], s[2:3], 8
	s_mov_b32 s3, 0
.LBB0_2:                                ; =>This Inner Loop Header: Depth=1
	s_load_b64 s[20:21], s[18:19], 0x0
                                        ; implicit-def: $vgpr7_vgpr8
	s_mov_b32 s2, exec_lo
	s_wait_kmcnt 0x0
	v_or_b32_e32 v4, s21, v6
	s_delay_alu instid0(VALU_DEP_1)
	v_cmpx_ne_u64_e32 0, v[3:4]
	s_wait_alu 0xfffe
	s_xor_b32 s22, exec_lo, s2
	s_cbranch_execz .LBB0_4
; %bb.3:                                ;   in Loop: Header=BB0_2 Depth=1
	s_cvt_f32_u32 s2, s20
	s_cvt_f32_u32 s23, s21
	s_sub_nc_u64 s[26:27], 0, s[20:21]
	s_wait_alu 0xfffe
	s_delay_alu instid0(SALU_CYCLE_1) | instskip(SKIP_1) | instid1(SALU_CYCLE_2)
	s_fmamk_f32 s2, s23, 0x4f800000, s2
	s_wait_alu 0xfffe
	v_s_rcp_f32 s2, s2
	s_delay_alu instid0(TRANS32_DEP_1) | instskip(SKIP_1) | instid1(SALU_CYCLE_2)
	s_mul_f32 s2, s2, 0x5f7ffffc
	s_wait_alu 0xfffe
	s_mul_f32 s23, s2, 0x2f800000
	s_wait_alu 0xfffe
	s_delay_alu instid0(SALU_CYCLE_2) | instskip(SKIP_1) | instid1(SALU_CYCLE_2)
	s_trunc_f32 s23, s23
	s_wait_alu 0xfffe
	s_fmamk_f32 s2, s23, 0xcf800000, s2
	s_cvt_u32_f32 s25, s23
	s_wait_alu 0xfffe
	s_delay_alu instid0(SALU_CYCLE_1) | instskip(SKIP_1) | instid1(SALU_CYCLE_2)
	s_cvt_u32_f32 s24, s2
	s_wait_alu 0xfffe
	s_mul_u64 s[28:29], s[26:27], s[24:25]
	s_wait_alu 0xfffe
	s_mul_hi_u32 s31, s24, s29
	s_mul_i32 s30, s24, s29
	s_mul_hi_u32 s2, s24, s28
	s_mul_i32 s33, s25, s28
	s_wait_alu 0xfffe
	s_add_nc_u64 s[30:31], s[2:3], s[30:31]
	s_mul_hi_u32 s23, s25, s28
	s_mul_hi_u32 s34, s25, s29
	s_add_co_u32 s2, s30, s33
	s_wait_alu 0xfffe
	s_add_co_ci_u32 s2, s31, s23
	s_mul_i32 s28, s25, s29
	s_add_co_ci_u32 s29, s34, 0
	s_wait_alu 0xfffe
	s_add_nc_u64 s[28:29], s[2:3], s[28:29]
	s_wait_alu 0xfffe
	v_add_co_u32 v4, s2, s24, s28
	s_delay_alu instid0(VALU_DEP_1) | instskip(SKIP_1) | instid1(VALU_DEP_1)
	s_cmp_lg_u32 s2, 0
	s_add_co_ci_u32 s25, s25, s29
	v_readfirstlane_b32 s24, v4
	s_wait_alu 0xfffe
	s_delay_alu instid0(VALU_DEP_1)
	s_mul_u64 s[26:27], s[26:27], s[24:25]
	s_wait_alu 0xfffe
	s_mul_hi_u32 s29, s24, s27
	s_mul_i32 s28, s24, s27
	s_mul_hi_u32 s2, s24, s26
	s_mul_i32 s30, s25, s26
	s_wait_alu 0xfffe
	s_add_nc_u64 s[28:29], s[2:3], s[28:29]
	s_mul_hi_u32 s23, s25, s26
	s_mul_hi_u32 s24, s25, s27
	s_wait_alu 0xfffe
	s_add_co_u32 s2, s28, s30
	s_add_co_ci_u32 s2, s29, s23
	s_mul_i32 s26, s25, s27
	s_add_co_ci_u32 s27, s24, 0
	s_wait_alu 0xfffe
	s_add_nc_u64 s[26:27], s[2:3], s[26:27]
	s_wait_alu 0xfffe
	v_add_co_u32 v4, s2, v4, s26
	s_delay_alu instid0(VALU_DEP_1) | instskip(SKIP_1) | instid1(VALU_DEP_1)
	s_cmp_lg_u32 s2, 0
	s_add_co_ci_u32 s2, s25, s27
	v_mul_hi_u32 v13, v5, v4
	s_wait_alu 0xfffe
	v_mad_co_u64_u32 v[7:8], null, v5, s2, 0
	v_mad_co_u64_u32 v[9:10], null, v6, v4, 0
	;; [unrolled: 1-line block ×3, first 2 shown]
	s_delay_alu instid0(VALU_DEP_3) | instskip(SKIP_1) | instid1(VALU_DEP_4)
	v_add_co_u32 v4, vcc_lo, v13, v7
	s_wait_alu 0xfffd
	v_add_co_ci_u32_e32 v7, vcc_lo, 0, v8, vcc_lo
	s_delay_alu instid0(VALU_DEP_2) | instskip(SKIP_1) | instid1(VALU_DEP_2)
	v_add_co_u32 v4, vcc_lo, v4, v9
	s_wait_alu 0xfffd
	v_add_co_ci_u32_e32 v4, vcc_lo, v7, v10, vcc_lo
	s_wait_alu 0xfffd
	v_add_co_ci_u32_e32 v7, vcc_lo, 0, v12, vcc_lo
	s_delay_alu instid0(VALU_DEP_2) | instskip(SKIP_1) | instid1(VALU_DEP_2)
	v_add_co_u32 v4, vcc_lo, v4, v11
	s_wait_alu 0xfffd
	v_add_co_ci_u32_e32 v9, vcc_lo, 0, v7, vcc_lo
	s_delay_alu instid0(VALU_DEP_2) | instskip(SKIP_1) | instid1(VALU_DEP_3)
	v_mul_lo_u32 v10, s21, v4
	v_mad_co_u64_u32 v[7:8], null, s20, v4, 0
	v_mul_lo_u32 v11, s20, v9
	s_delay_alu instid0(VALU_DEP_2) | instskip(NEXT) | instid1(VALU_DEP_2)
	v_sub_co_u32 v7, vcc_lo, v5, v7
	v_add3_u32 v8, v8, v11, v10
	s_delay_alu instid0(VALU_DEP_1) | instskip(SKIP_1) | instid1(VALU_DEP_1)
	v_sub_nc_u32_e32 v10, v6, v8
	s_wait_alu 0xfffd
	v_subrev_co_ci_u32_e64 v10, s2, s21, v10, vcc_lo
	v_add_co_u32 v11, s2, v4, 2
	s_wait_alu 0xf1ff
	v_add_co_ci_u32_e64 v12, s2, 0, v9, s2
	v_sub_co_u32 v13, s2, v7, s20
	v_sub_co_ci_u32_e32 v8, vcc_lo, v6, v8, vcc_lo
	s_wait_alu 0xf1ff
	v_subrev_co_ci_u32_e64 v10, s2, 0, v10, s2
	s_delay_alu instid0(VALU_DEP_3) | instskip(NEXT) | instid1(VALU_DEP_3)
	v_cmp_le_u32_e32 vcc_lo, s20, v13
	v_cmp_eq_u32_e64 s2, s21, v8
	s_wait_alu 0xfffd
	v_cndmask_b32_e64 v13, 0, -1, vcc_lo
	v_cmp_le_u32_e32 vcc_lo, s21, v10
	s_wait_alu 0xfffd
	v_cndmask_b32_e64 v14, 0, -1, vcc_lo
	v_cmp_le_u32_e32 vcc_lo, s20, v7
	;; [unrolled: 3-line block ×3, first 2 shown]
	s_wait_alu 0xfffd
	v_cndmask_b32_e64 v15, 0, -1, vcc_lo
	v_cmp_eq_u32_e32 vcc_lo, s21, v10
	s_wait_alu 0xf1ff
	s_delay_alu instid0(VALU_DEP_2)
	v_cndmask_b32_e64 v7, v15, v7, s2
	s_wait_alu 0xfffd
	v_cndmask_b32_e32 v10, v14, v13, vcc_lo
	v_add_co_u32 v13, vcc_lo, v4, 1
	s_wait_alu 0xfffd
	v_add_co_ci_u32_e32 v14, vcc_lo, 0, v9, vcc_lo
	s_delay_alu instid0(VALU_DEP_3) | instskip(SKIP_2) | instid1(VALU_DEP_3)
	v_cmp_ne_u32_e32 vcc_lo, 0, v10
	s_wait_alu 0xfffd
	v_cndmask_b32_e32 v10, v13, v11, vcc_lo
	v_cndmask_b32_e32 v8, v14, v12, vcc_lo
	v_cmp_ne_u32_e32 vcc_lo, 0, v7
	s_wait_alu 0xfffd
	s_delay_alu instid0(VALU_DEP_2)
	v_dual_cndmask_b32 v7, v4, v10 :: v_dual_cndmask_b32 v8, v9, v8
.LBB0_4:                                ;   in Loop: Header=BB0_2 Depth=1
	s_wait_alu 0xfffe
	s_and_not1_saveexec_b32 s2, s22
	s_cbranch_execz .LBB0_6
; %bb.5:                                ;   in Loop: Header=BB0_2 Depth=1
	v_cvt_f32_u32_e32 v4, s20
	s_sub_co_i32 s22, 0, s20
	s_delay_alu instid0(VALU_DEP_1) | instskip(NEXT) | instid1(TRANS32_DEP_1)
	v_rcp_iflag_f32_e32 v4, v4
	v_mul_f32_e32 v4, 0x4f7ffffe, v4
	s_delay_alu instid0(VALU_DEP_1) | instskip(SKIP_1) | instid1(VALU_DEP_1)
	v_cvt_u32_f32_e32 v4, v4
	s_wait_alu 0xfffe
	v_mul_lo_u32 v7, s22, v4
	s_delay_alu instid0(VALU_DEP_1) | instskip(NEXT) | instid1(VALU_DEP_1)
	v_mul_hi_u32 v7, v4, v7
	v_add_nc_u32_e32 v4, v4, v7
	s_delay_alu instid0(VALU_DEP_1) | instskip(NEXT) | instid1(VALU_DEP_1)
	v_mul_hi_u32 v4, v5, v4
	v_mul_lo_u32 v7, v4, s20
	v_add_nc_u32_e32 v8, 1, v4
	s_delay_alu instid0(VALU_DEP_2) | instskip(NEXT) | instid1(VALU_DEP_1)
	v_sub_nc_u32_e32 v7, v5, v7
	v_subrev_nc_u32_e32 v9, s20, v7
	v_cmp_le_u32_e32 vcc_lo, s20, v7
	s_wait_alu 0xfffd
	s_delay_alu instid0(VALU_DEP_2) | instskip(NEXT) | instid1(VALU_DEP_1)
	v_dual_cndmask_b32 v7, v7, v9 :: v_dual_cndmask_b32 v4, v4, v8
	v_cmp_le_u32_e32 vcc_lo, s20, v7
	s_delay_alu instid0(VALU_DEP_2) | instskip(SKIP_1) | instid1(VALU_DEP_1)
	v_add_nc_u32_e32 v8, 1, v4
	s_wait_alu 0xfffd
	v_dual_cndmask_b32 v7, v4, v8 :: v_dual_mov_b32 v8, v3
.LBB0_6:                                ;   in Loop: Header=BB0_2 Depth=1
	s_wait_alu 0xfffe
	s_or_b32 exec_lo, exec_lo, s2
	s_load_b64 s[22:23], s[14:15], 0x0
	s_delay_alu instid0(VALU_DEP_1)
	v_mul_lo_u32 v4, v8, s20
	v_mul_lo_u32 v11, v7, s21
	v_mad_co_u64_u32 v[9:10], null, v7, s20, 0
	s_add_nc_u64 s[16:17], s[16:17], 1
	s_add_nc_u64 s[14:15], s[14:15], 8
	s_wait_alu 0xfffe
	v_cmp_ge_u64_e64 s2, s[16:17], s[6:7]
	s_add_nc_u64 s[18:19], s[18:19], 8
	s_delay_alu instid0(VALU_DEP_2) | instskip(NEXT) | instid1(VALU_DEP_3)
	v_add3_u32 v4, v10, v11, v4
	v_sub_co_u32 v5, vcc_lo, v5, v9
	s_wait_alu 0xfffd
	s_delay_alu instid0(VALU_DEP_2) | instskip(SKIP_3) | instid1(VALU_DEP_2)
	v_sub_co_ci_u32_e32 v4, vcc_lo, v6, v4, vcc_lo
	s_and_b32 vcc_lo, exec_lo, s2
	s_wait_kmcnt 0x0
	v_mul_lo_u32 v6, s23, v5
	v_mul_lo_u32 v4, s22, v4
	v_mad_co_u64_u32 v[1:2], null, s22, v5, v[1:2]
	s_delay_alu instid0(VALU_DEP_1)
	v_add3_u32 v2, v6, v2, v4
	s_wait_alu 0xfffe
	s_cbranch_vccnz .LBB0_9
; %bb.7:                                ;   in Loop: Header=BB0_2 Depth=1
	v_dual_mov_b32 v5, v7 :: v_dual_mov_b32 v6, v8
	s_branch .LBB0_2
.LBB0_8:
	v_dual_mov_b32 v8, v6 :: v_dual_mov_b32 v7, v5
.LBB0_9:
	s_lshl_b64 s[2:3], s[6:7], 3
	v_mul_hi_u32 v3, 0x4bda130, v0
	s_wait_alu 0xfffe
	s_add_nc_u64 s[2:3], s[12:13], s[2:3]
	s_load_b64 s[0:1], s[0:1], 0x20
	s_load_b64 s[2:3], s[2:3], 0x0
                                        ; implicit-def: $vgpr20
                                        ; implicit-def: $vgpr21
                                        ; implicit-def: $vgpr22
                                        ; implicit-def: $vgpr23
	s_delay_alu instid0(VALU_DEP_1) | instskip(NEXT) | instid1(VALU_DEP_1)
	v_mul_u32_u24_e32 v3, 54, v3
	v_sub_nc_u32_e32 v6, v0, v3
	s_delay_alu instid0(VALU_DEP_1)
	v_add_nc_u32_e32 v11, 54, v6
	v_add_nc_u32_e32 v10, 0x6c, v6
	;; [unrolled: 1-line block ×3, first 2 shown]
	s_wait_kmcnt 0x0
	v_cmp_gt_u64_e32 vcc_lo, s[0:1], v[7:8]
	v_mul_lo_u32 v3, s2, v8
	v_mul_lo_u32 v4, s3, v7
	v_mad_co_u64_u32 v[0:1], null, s2, v7, v[1:2]
	v_cmp_le_u64_e64 s0, s[0:1], v[7:8]
	v_add_nc_u32_e32 v7, 0xd8, v6
	s_delay_alu instid0(VALU_DEP_3) | instskip(NEXT) | instid1(VALU_DEP_3)
	v_add3_u32 v1, v4, v1, v3
	s_and_saveexec_b32 s1, s0
	s_wait_alu 0xfffe
	s_xor_b32 s0, exec_lo, s1
; %bb.10:
	v_add_nc_u32_e32 v20, 54, v6
	v_add_nc_u32_e32 v21, 0x6c, v6
	;; [unrolled: 1-line block ×4, first 2 shown]
; %bb.11:
	s_wait_alu 0xfffe
	s_or_saveexec_b32 s1, s0
	v_lshlrev_b64_e32 v[4:5], 2, v[0:1]
	v_add_nc_u32_e32 v17, 0x120, v6
	v_or_b32_e32 v18, 0x240, v6
	v_add_nc_u32_e32 v15, 0x156, v6
	v_add_nc_u32_e32 v16, 0x276, v6
	;; [unrolled: 1-line block ×6, first 2 shown]
                                        ; implicit-def: $vgpr50
                                        ; implicit-def: $vgpr24
                                        ; implicit-def: $vgpr66
                                        ; implicit-def: $vgpr30
                                        ; implicit-def: $vgpr61
                                        ; implicit-def: $vgpr34
                                        ; implicit-def: $vgpr51
                                        ; implicit-def: $vgpr25
                                        ; implicit-def: $vgpr67
                                        ; implicit-def: $vgpr29
                                        ; implicit-def: $vgpr64
                                        ; implicit-def: $vgpr31
                                        ; implicit-def: $vgpr52
                                        ; implicit-def: $vgpr26
                                        ; implicit-def: $vgpr65
                                        ; implicit-def: $vgpr19
                                        ; implicit-def: $vgpr60
                                        ; implicit-def: $vgpr47
                                        ; implicit-def: $vgpr56
                                        ; implicit-def: $vgpr36
                                        ; implicit-def: $vgpr63
                                        ; implicit-def: $vgpr48
                                        ; implicit-def: $vgpr62
                                        ; implicit-def: $vgpr49
                                        ; implicit-def: $vgpr3
                                        ; implicit-def: $vgpr0
                                        ; implicit-def: $vgpr59
                                        ; implicit-def: $vgpr35
                                        ; implicit-def: $vgpr58
                                        ; implicit-def: $vgpr46
                                        ; implicit-def: $vgpr2
                                        ; implicit-def: $vgpr1
                                        ; implicit-def: $vgpr54
                                        ; implicit-def: $vgpr55
                                        ; implicit-def: $vgpr57
                                        ; implicit-def: $vgpr53
	s_wait_alu 0xfffe
	s_xor_b32 exec_lo, exec_lo, s1
	s_cbranch_execz .LBB0_15
; %bb.12:
	v_mad_co_u64_u32 v[21:22], null, s8, v17, 0
	v_mad_co_u64_u32 v[0:1], null, s8, v6, 0
	;; [unrolled: 1-line block ×4, first 2 shown]
	s_delay_alu instid0(VALU_DEP_4) | instskip(SKIP_2) | instid1(VALU_DEP_3)
	v_mov_b32_e32 v2, v22
	v_mad_co_u64_u32 v[30:31], null, s8, v16, 0
	v_mad_co_u64_u32 v[41:42], null, s8, v14, 0
	;; [unrolled: 1-line block ×3, first 2 shown]
	v_mov_b32_e32 v1, v24
	v_mad_co_u64_u32 v[2:3], null, s9, v17, v[2:3]
	v_add_co_u32 v3, s0, s10, v4
	s_wait_alu 0xf1ff
	v_add_co_ci_u32_e64 v20, s0, s11, v5, s0
	v_mad_co_u64_u32 v[43:44], null, s8, v9, 0
	s_delay_alu instid0(VALU_DEP_4) | instskip(SKIP_3) | instid1(VALU_DEP_3)
	v_mad_co_u64_u32 v[27:28], null, s9, v18, v[1:2]
	v_dual_mov_b32 v1, v19 :: v_dual_mov_b32 v22, v2
	v_mad_co_u64_u32 v[28:29], null, s8, v15, 0
	v_mov_b32_e32 v2, v26
	v_lshlrev_b64_e32 v[0:1], 2, v[0:1]
	v_mov_b32_e32 v24, v27
	v_lshlrev_b64_e32 v[21:22], 2, v[21:22]
	s_mov_b32 s2, exec_lo
	v_mad_co_u64_u32 v[26:27], null, s9, v11, v[2:3]
	v_mov_b32_e32 v2, v29
	v_add_co_u32 v0, s0, v3, v0
	v_lshlrev_b64_e32 v[23:24], 2, v[23:24]
	s_wait_alu 0xf1ff
	v_add_co_ci_u32_e64 v1, s0, v20, v1, s0
	v_add_co_u32 v21, s0, v3, v21
	v_mad_co_u64_u32 v[32:33], null, s9, v15, v[2:3]
	s_wait_alu 0xf1ff
	v_add_co_ci_u32_e64 v22, s0, v20, v22, s0
	v_mov_b32_e32 v2, v31
	v_mad_co_u64_u32 v[33:34], null, s8, v10, 0
	v_add_co_u32 v35, s0, v3, v23
	s_wait_alu 0xf1ff
	v_add_co_ci_u32_e64 v36, s0, v20, v24, s0
	v_lshlrev_b64_e32 v[23:24], 2, v[25:26]
	v_mad_co_u64_u32 v[25:26], null, s9, v16, v[2:3]
	v_mov_b32_e32 v29, v32
	v_mad_co_u64_u32 v[26:27], null, s8, v13, 0
	v_mov_b32_e32 v2, v34
	v_add_co_u32 v37, s0, v3, v23
	s_wait_alu 0xf1ff
	v_add_co_ci_u32_e64 v38, s0, v20, v24, s0
	v_lshlrev_b64_e32 v[23:24], 2, v[28:29]
	v_mov_b32_e32 v31, v25
	v_mad_co_u64_u32 v[28:29], null, s9, v10, v[2:3]
	v_mov_b32_e32 v2, v27
                                        ; implicit-def: $vgpr53
                                        ; implicit-def: $vgpr57
                                        ; implicit-def: $vgpr55
                                        ; implicit-def: $vgpr54
	s_delay_alu instid0(VALU_DEP_4)
	v_add_co_u32 v39, s0, v3, v23
	s_wait_alu 0xf1ff
	v_add_co_ci_u32_e64 v40, s0, v20, v24, s0
	v_lshlrev_b64_e32 v[23:24], 2, v[30:31]
	v_mad_co_u64_u32 v[29:30], null, s9, v13, v[2:3]
	v_mov_b32_e32 v2, v42
	v_mov_b32_e32 v34, v28
	s_delay_alu instid0(VALU_DEP_4) | instskip(SKIP_4) | instid1(VALU_DEP_2)
	v_add_co_u32 v31, s0, v3, v23
	s_wait_alu 0xf1ff
	v_add_co_ci_u32_e64 v32, s0, v20, v24, s0
	v_mov_b32_e32 v27, v29
	v_lshlrev_b64_e32 v[23:24], 2, v[33:34]
	v_lshlrev_b64_e32 v[25:26], 2, v[26:27]
	v_mad_co_u64_u32 v[27:28], null, s9, v14, v[2:3]
	v_mov_b32_e32 v2, v44
	s_delay_alu instid0(VALU_DEP_4) | instskip(SKIP_2) | instid1(VALU_DEP_3)
	v_add_co_u32 v45, s0, v3, v23
	s_wait_alu 0xf1ff
	v_add_co_ci_u32_e64 v46, s0, v20, v24, s0
	v_mad_co_u64_u32 v[23:24], null, s9, v9, v[2:3]
	v_mov_b32_e32 v42, v27
	v_mad_co_u64_u32 v[27:28], null, s8, v8, 0
	v_add_co_u32 v47, s0, v3, v25
	s_wait_alu 0xf1ff
	v_add_co_ci_u32_e64 v48, s0, v20, v26, s0
	s_clause 0x7
	global_load_b32 v24, v[0:1], off
	global_load_b32 v30, v[21:22], off
	;; [unrolled: 1-line block ×8, first 2 shown]
	v_mad_co_u64_u32 v[21:22], null, s8, v12, 0
	v_mov_b32_e32 v2, v28
	v_mov_b32_e32 v44, v23
	v_mad_co_u64_u32 v[35:36], null, s8, v7, 0
	v_add_nc_u32_e32 v45, 0x318, v6
	s_delay_alu instid0(VALU_DEP_4)
	v_mad_co_u64_u32 v[32:33], null, s9, v8, v[2:3]
	v_mov_b32_e32 v2, v22
	v_lshlrev_b64_e32 v[22:23], 2, v[43:44]
	v_add_nc_u32_e32 v44, 0x1f8, v6
	v_lshlrev_b64_e32 v[0:1], 2, v[41:42]
	v_mov_b32_e32 v28, v32
	v_mad_co_u64_u32 v[32:33], null, s9, v12, v[2:3]
	v_mov_b32_e32 v2, v36
	v_mad_co_u64_u32 v[37:38], null, s8, v44, 0
	v_add_co_u32 v0, s0, v3, v0
	s_delay_alu instid0(VALU_DEP_3) | instskip(SKIP_1) | instid1(VALU_DEP_4)
	v_mad_co_u64_u32 v[39:40], null, s9, v7, v[2:3]
	v_mad_co_u64_u32 v[40:41], null, s8, v45, 0
	v_mov_b32_e32 v2, v38
	s_wait_alu 0xf1ff
	v_add_co_ci_u32_e64 v1, s0, v20, v1, s0
	v_add_co_u32 v42, s0, v3, v22
	v_mov_b32_e32 v22, v32
	v_mad_co_u64_u32 v[32:33], null, s9, v44, v[2:3]
	v_mov_b32_e32 v2, v41
	v_lshlrev_b64_e32 v[27:28], 2, v[27:28]
	v_mov_b32_e32 v36, v39
	v_lshlrev_b64_e32 v[21:22], 2, v[21:22]
	s_wait_alu 0xf1ff
	v_add_co_ci_u32_e64 v43, s0, v20, v23, s0
	v_mad_co_u64_u32 v[44:45], null, s9, v45, v[2:3]
	v_add_co_u32 v27, s0, v3, v27
	v_lshlrev_b64_e32 v[35:36], 2, v[35:36]
	v_mov_b32_e32 v38, v32
	s_wait_alu 0xf1ff
	v_add_co_ci_u32_e64 v28, s0, v20, v28, s0
	v_mov_b32_e32 v41, v44
	v_add_co_u32 v21, s0, v3, v21
	s_wait_alu 0xf1ff
	v_add_co_ci_u32_e64 v22, s0, v20, v22, s0
	v_lshlrev_b64_e32 v[32:33], 2, v[37:38]
	v_add_co_u32 v37, s0, v3, v35
	s_wait_alu 0xf1ff
	v_add_co_ci_u32_e64 v38, s0, v20, v36, s0
	v_lshlrev_b64_e32 v[35:36], 2, v[40:41]
	s_delay_alu instid0(VALU_DEP_4) | instskip(SKIP_2) | instid1(VALU_DEP_3)
	v_add_co_u32 v32, s0, v3, v32
	s_wait_alu 0xf1ff
	v_add_co_ci_u32_e64 v33, s0, v20, v33, s0
                                        ; implicit-def: $vgpr2
	v_add_co_u32 v39, s0, v3, v35
	s_wait_alu 0xf1ff
	v_add_co_ci_u32_e64 v40, s0, v20, v36, s0
	s_clause 0x6
	global_load_b32 v47, v[0:1], off
	global_load_b32 v36, v[42:43], off
	;; [unrolled: 1-line block ×7, first 2 shown]
                                        ; implicit-def: $vgpr1
	v_cmpx_gt_u32_e32 18, v6
	s_cbranch_execz .LBB0_14
; %bb.13:
	v_add_nc_u32_e32 v39, 0x34e, v6
	s_delay_alu instid0(VALU_DEP_1) | instskip(NEXT) | instid1(VALU_DEP_1)
	v_mad_co_u64_u32 v[27:28], null, s8, v39, 0
	v_dual_mov_b32 v23, v28 :: v_dual_add_nc_u32 v32, 0x10e, v6
	s_delay_alu instid0(VALU_DEP_1) | instskip(NEXT) | instid1(VALU_DEP_1)
	v_mad_co_u64_u32 v[1:2], null, s8, v32, 0
	v_mad_co_u64_u32 v[32:33], null, s9, v32, v[2:3]
	s_delay_alu instid0(VALU_DEP_1) | instskip(NEXT) | instid1(VALU_DEP_1)
	v_dual_mov_b32 v2, v32 :: v_dual_add_nc_u32 v37, 0x22e, v6
	v_mad_co_u64_u32 v[21:22], null, s8, v37, 0
	s_delay_alu instid0(VALU_DEP_2) | instskip(NEXT) | instid1(VALU_DEP_2)
	v_lshlrev_b64_e32 v[1:2], 2, v[1:2]
	v_mad_co_u64_u32 v[37:38], null, s9, v37, v[22:23]
	s_delay_alu instid0(VALU_DEP_2) | instskip(SKIP_1) | instid1(VALU_DEP_3)
	v_add_co_u32 v1, s0, v3, v1
	s_wait_alu 0xf1ff
	v_add_co_ci_u32_e64 v2, s0, v20, v2, s0
	s_delay_alu instid0(VALU_DEP_3) | instskip(SKIP_2) | instid1(VALU_DEP_2)
	v_mov_b32_e32 v22, v37
	s_wait_loadcnt 0xe
	v_mad_co_u64_u32 v[38:39], null, s9, v39, v[23:24]
	v_lshlrev_b64_e32 v[21:22], 2, v[21:22]
	s_delay_alu instid0(VALU_DEP_2) | instskip(NEXT) | instid1(VALU_DEP_2)
	v_mov_b32_e32 v28, v38
	v_add_co_u32 v21, s0, v3, v21
	s_wait_alu 0xf1ff
	s_delay_alu instid0(VALU_DEP_3) | instskip(NEXT) | instid1(VALU_DEP_3)
	v_add_co_ci_u32_e64 v22, s0, v20, v22, s0
	v_lshlrev_b64_e32 v[27:28], 2, v[27:28]
	s_delay_alu instid0(VALU_DEP_1) | instskip(SKIP_1) | instid1(VALU_DEP_2)
	v_add_co_u32 v27, s0, v3, v27
	s_wait_alu 0xf1ff
	v_add_co_ci_u32_e64 v28, s0, v20, v28, s0
	s_clause 0x2
	global_load_b32 v1, v[1:2], off
	global_load_b32 v53, v[21:22], off
	;; [unrolled: 1-line block ×3, first 2 shown]
	s_wait_loadcnt 0x2
	v_lshrrev_b32_e32 v2, 16, v1
	s_wait_loadcnt 0x1
	v_lshrrev_b32_e32 v57, 16, v53
	;; [unrolled: 2-line block ×3, first 2 shown]
.LBB0_14:
	s_wait_alu 0xfffe
	s_or_b32 exec_lo, exec_lo, s2
	s_wait_loadcnt 0xe
	v_lshrrev_b32_e32 v50, 16, v24
	s_wait_loadcnt 0xd
	v_lshrrev_b32_e32 v66, 16, v30
	;; [unrolled: 2-line block ×15, first 2 shown]
	v_dual_mov_b32 v23, v7 :: v_dual_mov_b32 v22, v9
	v_dual_mov_b32 v21, v10 :: v_dual_mov_b32 v20, v11
.LBB0_15:
	s_or_b32 exec_lo, exec_lo, s1
	v_add_f16_e32 v27, v30, v34
	v_add_f16_e32 v28, v24, v30
	v_sub_f16_e32 v32, v66, v61
	v_add_f16_e32 v33, v29, v31
	v_sub_f16_e32 v37, v67, v64
	v_fmac_f16_e32 v24, -0.5, v27
	v_add_f16_e32 v27, v25, v29
	v_add_f16_e32 v38, v28, v34
	v_fmac_f16_e32 v25, -0.5, v33
	v_add_f16_e32 v28, v26, v19
	v_fmamk_f16 v39, v32, 0x3aee, v24
	v_fmac_f16_e32 v24, 0xbaee, v32
	v_add_f16_e32 v40, v27, v31
	v_add_f16_e32 v27, v19, v47
	;; [unrolled: 1-line block ×3, first 2 shown]
	v_fmamk_f16 v41, v37, 0x3aee, v25
	v_fmac_f16_e32 v25, 0xbaee, v37
	v_add_f16_e32 v37, v28, v47
	v_fmac_f16_e32 v26, -0.5, v27
	v_sub_f16_e32 v27, v65, v60
	v_add_f16_e32 v28, v36, v48
	v_fmac_f16_e32 v36, -0.5, v32
	v_sub_f16_e32 v32, v63, v62
	v_sub_f16_e32 v33, v59, v58
	v_fmamk_f16 v42, v27, 0x3aee, v26
	v_fmac_f16_e32 v26, 0xbaee, v27
	v_add_f16_e32 v27, v35, v46
	v_fmamk_f16 v44, v32, 0x3aee, v36
	v_fmac_f16_e32 v36, 0xbaee, v32
	v_add_f16_e32 v32, v55, v53
	v_add_f16_e32 v43, v28, v49
	;; [unrolled: 1-line block ×3, first 2 shown]
	v_fmac_f16_e32 v0, -0.5, v27
	v_add_f16_e32 v45, v1, v53
	v_fmac_f16_e32 v1, -0.5, v32
	v_sub_f16_e32 v68, v57, v54
	v_mad_u32_u24 v70, v6, 6, 0
	v_mad_i32_i24 v69, v20, 6, 0
	v_add_f16_e32 v27, v28, v46
	v_fmamk_f16 v28, v33, 0x3aee, v0
	v_fmac_f16_e32 v0, 0xbaee, v33
	v_add_f16_e32 v32, v55, v45
	v_fmamk_f16 v33, v68, 0x3aee, v1
	v_fmac_f16_e32 v1, 0xbaee, v68
	ds_store_b16 v70, v38
	ds_store_b16 v70, v39 offset:2
	ds_store_b16 v70, v24 offset:4
	v_mad_i32_i24 v68, v21, 6, 0
	v_mad_i32_i24 v24, v22, 6, 0
	v_cmp_gt_u32_e64 s0, 18, v6
	ds_store_b16 v69, v40
	ds_store_b16 v69, v41 offset:2
	ds_store_b16 v69, v25 offset:4
	v_mad_i32_i24 v25, v23, 6, 0
	ds_store_b16 v68, v37
	ds_store_b16 v68, v42 offset:2
	ds_store_b16 v68, v26 offset:4
	ds_store_b16 v24, v43
	ds_store_b16 v24, v44 offset:2
	ds_store_b16 v24, v36 offset:4
	;; [unrolled: 3-line block ×3, first 2 shown]
	s_and_saveexec_b32 s1, s0
	s_cbranch_execz .LBB0_17
; %bb.16:
	ds_store_b16 v70, v32 offset:1620
	ds_store_b16 v70, v33 offset:1622
	;; [unrolled: 1-line block ×3, first 2 shown]
.LBB0_17:
	s_wait_alu 0xfffe
	s_or_b32 exec_lo, exec_lo, s1
	v_lshlrev_b32_e32 v24, 2, v6
	v_lshlrev_b32_e32 v74, 2, v20
	global_wb scope:SCOPE_SE
	s_wait_dscnt 0x0
	s_barrier_signal -1
	s_barrier_wait -1
	v_sub_nc_u32_e32 v26, v70, v24
	v_sub_nc_u32_e32 v25, v69, v74
	global_inv scope:SCOPE_SE
	v_mul_i32_i24_e32 v73, 6, v22
	v_mul_i32_i24_e32 v72, 6, v23
	ds_load_u16 v24, v26
	ds_load_u16 v42, v26 offset:288
	ds_load_u16 v38, v26 offset:1152
	;; [unrolled: 1-line block ×7, first 2 shown]
	ds_load_u16 v25, v25
	ds_load_u16 v37, v26 offset:1548
	ds_load_u16 v44, v26 offset:1440
	;; [unrolled: 1-line block ×3, first 2 shown]
	v_cmp_gt_u32_e64 s1, 36, v6
	v_lshlrev_b32_e32 v71, 2, v21
	s_delay_alu instid0(VALU_DEP_2)
	s_and_saveexec_b32 s2, s1
	s_cbranch_execz .LBB0_19
; %bb.18:
	s_delay_alu instid0(VALU_DEP_1)
	v_sub_nc_u32_e32 v1, v68, v71
	ds_load_u16 v28, v26 offset:504
	ds_load_u16 v0, v26 offset:792
	;; [unrolled: 1-line block ×4, first 2 shown]
	ds_load_u16 v27, v1
	ds_load_u16 v1, v26 offset:1656
.LBB0_19:
	s_wait_alu 0xfffe
	s_or_b32 exec_lo, exec_lo, s2
	v_add_f16_e32 v75, v66, v61
	v_sub_f16_e32 v30, v30, v34
	v_add_f16_e32 v34, v67, v64
	v_add_f16_e32 v66, v50, v66
	;; [unrolled: 1-line block ×3, first 2 shown]
	v_fmac_f16_e32 v50, -0.5, v75
	v_sub_f16_e32 v29, v29, v31
	v_fmac_f16_e32 v51, -0.5, v34
	v_add_f16_e32 v31, v66, v61
	v_add_f16_e32 v61, v67, v64
	v_fmamk_f16 v34, v30, 0xbaee, v50
	v_fmac_f16_e32 v50, 0x3aee, v30
	v_add_f16_e32 v30, v65, v60
	v_fmamk_f16 v64, v29, 0xbaee, v51
	v_fmac_f16_e32 v51, 0x3aee, v29
	v_add_f16_e32 v29, v63, v62
	v_add_f16_e32 v65, v52, v65
	v_fmac_f16_e32 v52, -0.5, v30
	v_sub_f16_e32 v19, v19, v47
	v_add_f16_e32 v30, v56, v63
	v_fmac_f16_e32 v56, -0.5, v29
	v_sub_f16_e32 v29, v48, v49
	v_sub_nc_u32_e32 v74, 0, v74
	v_fmamk_f16 v49, v19, 0xbaee, v52
	v_fmac_f16_e32 v52, 0x3aee, v19
	v_add_f16_e32 v19, v59, v58
	v_fmamk_f16 v63, v29, 0xbaee, v56
	v_fmac_f16_e32 v56, 0x3aee, v29
	v_add_f16_e32 v29, v54, v57
	v_add_f16_e32 v62, v30, v62
	v_add_f16_e32 v30, v3, v59
	v_fmac_f16_e32 v3, -0.5, v19
	v_sub_f16_e32 v19, v35, v46
	v_add_f16_e32 v35, v2, v57
	v_fmac_f16_e32 v2, -0.5, v29
	v_sub_f16_e32 v29, v53, v55
	v_add_f16_e32 v60, v65, v60
	v_add_f16_e32 v30, v30, v58
	v_fmamk_f16 v46, v19, 0xbaee, v3
	v_fmac_f16_e32 v3, 0x3aee, v19
	v_add_f16_e32 v47, v54, v35
	v_fmamk_f16 v48, v29, 0xbaee, v2
	v_fmac_f16_e32 v2, 0x3aee, v29
	v_add_nc_u32_e32 v19, 0x10e, v6
	v_add_nc_u32_e32 v29, 0, v73
	global_wb scope:SCOPE_SE
	s_wait_dscnt 0x0
	s_barrier_signal -1
	s_barrier_wait -1
	global_inv scope:SCOPE_SE
	ds_store_b16 v70, v31
	ds_store_b16 v70, v34 offset:2
	ds_store_b16 v70, v50 offset:4
	ds_store_b16 v69, v61
	ds_store_b16 v69, v64 offset:2
	ds_store_b16 v69, v51 offset:4
	v_add_nc_u32_e32 v31, 0, v72
	ds_store_b16 v68, v60
	ds_store_b16 v68, v49 offset:2
	ds_store_b16 v68, v52 offset:4
	ds_store_b16 v29, v62
	ds_store_b16 v29, v63 offset:2
	ds_store_b16 v29, v56 offset:4
	;; [unrolled: 3-line block ×3, first 2 shown]
	s_and_saveexec_b32 s2, s0
	s_cbranch_execz .LBB0_21
; %bb.20:
	v_mad_u32_u24 v29, v19, 6, 0
	ds_store_b16 v29, v47
	ds_store_b16 v29, v48 offset:2
	ds_store_b16 v29, v2 offset:4
.LBB0_21:
	s_wait_alu 0xfffe
	s_or_b32 exec_lo, exec_lo, s2
	global_wb scope:SCOPE_SE
	s_wait_dscnt 0x0
	s_barrier_signal -1
	s_barrier_wait -1
	global_inv scope:SCOPE_SE
	ds_load_u16 v35, v26
	ds_load_u16 v51, v26 offset:288
	v_add_nc_u32_e32 v29, v69, v74
	ds_load_u16 v52, v26 offset:1152
	ds_load_u16 v49, v26 offset:972
	;; [unrolled: 1-line block ×6, first 2 shown]
	ds_load_u16 v34, v29
	ds_load_u16 v50, v26 offset:1548
	ds_load_u16 v57, v26 offset:1440
	;; [unrolled: 1-line block ×3, first 2 shown]
	s_and_saveexec_b32 s2, s1
	s_cbranch_execz .LBB0_23
; %bb.22:
	v_sub_nc_u32_e32 v2, v68, v71
	ds_load_u16 v46, v26 offset:504
	ds_load_u16 v3, v26 offset:792
	ds_load_u16 v47, v26 offset:1080
	ds_load_u16 v48, v26 offset:1368
	ds_load_u16 v30, v2
	ds_load_u16 v2, v26 offset:1656
.LBB0_23:
	s_wait_alu 0xfffe
	s_or_b32 exec_lo, exec_lo, s2
	v_and_b32_e32 v31, 0xff, v6
	v_and_b32_e32 v59, 0xff, v20
	;; [unrolled: 1-line block ×3, first 2 shown]
	s_delay_alu instid0(VALU_DEP_3) | instskip(NEXT) | instid1(VALU_DEP_3)
	v_mul_lo_u16 v60, 0xab, v31
	v_mul_lo_u16 v59, 0xab, v59
	s_delay_alu instid0(VALU_DEP_3) | instskip(NEXT) | instid1(VALU_DEP_3)
	v_mul_lo_u16 v61, 0xab, v61
	v_lshrrev_b16 v60, 9, v60
	s_delay_alu instid0(VALU_DEP_3) | instskip(NEXT) | instid1(VALU_DEP_3)
	v_lshrrev_b16 v59, 9, v59
	v_lshrrev_b16 v61, 9, v61
	s_delay_alu instid0(VALU_DEP_3) | instskip(NEXT) | instid1(VALU_DEP_3)
	v_mul_lo_u16 v62, v60, 3
	v_mul_lo_u16 v63, v59, 3
	s_delay_alu instid0(VALU_DEP_3)
	v_mul_lo_u16 v64, v61, 3
	v_and_b32_e32 v60, 0xffff, v60
	v_and_b32_e32 v59, 0xffff, v59
	v_sub_nc_u16 v62, v6, v62
	v_sub_nc_u16 v63, v20, v63
	;; [unrolled: 1-line block ×3, first 2 shown]
	s_delay_alu instid0(VALU_DEP_3) | instskip(NEXT) | instid1(VALU_DEP_3)
	v_and_b32_e32 v62, 0xff, v62
	v_and_b32_e32 v63, 0xff, v63
	s_delay_alu instid0(VALU_DEP_3) | instskip(NEXT) | instid1(VALU_DEP_3)
	v_and_b32_e32 v64, 0xff, v64
	v_mul_u32_u24_e32 v65, 5, v62
	s_delay_alu instid0(VALU_DEP_3) | instskip(NEXT) | instid1(VALU_DEP_3)
	v_mul_u32_u24_e32 v66, 5, v63
	v_mul_u32_u24_e32 v67, 5, v64
	v_lshlrev_b32_e32 v62, 1, v62
	v_lshlrev_b32_e32 v63, 1, v63
	v_lshlrev_b32_e32 v65, 2, v65
	v_lshlrev_b32_e32 v66, 2, v66
	v_lshlrev_b32_e32 v67, 2, v67
	s_clause 0x5
	global_load_b128 v[78:81], v65, s[4:5]
	global_load_b32 v90, v65, s[4:5] offset:16
	global_load_b128 v[82:85], v66, s[4:5]
	global_load_b32 v91, v66, s[4:5] offset:16
	global_load_b128 v[86:89], v67, s[4:5]
	global_load_b32 v92, v67, s[4:5] offset:16
	v_mul_u32_u24_e32 v65, 36, v60
	v_mul_u32_u24_e32 v66, 36, v59
	v_and_b32_e32 v60, 0xffff, v61
	v_lshlrev_b32_e32 v59, 1, v64
	global_wb scope:SCOPE_SE
	s_wait_loadcnt_dscnt 0x0
	v_add3_u32 v62, 0, v65, v62
	v_add3_u32 v61, 0, v66, v63
	s_barrier_signal -1
	s_barrier_wait -1
	global_inv scope:SCOPE_SE
	v_lshrrev_b32_e32 v67, 16, v90
	v_lshrrev_b32_e32 v68, 16, v82
	;; [unrolled: 1-line block ×15, first 2 shown]
	v_mul_f16_e32 v100, v51, v63
	v_mul_f16_e32 v75, v42, v63
	;; [unrolled: 1-line block ×30, first 2 shown]
	v_fma_f16 v42, v42, v78, -v100
	v_fmac_f16_e32 v75, v51, v78
	v_fma_f16 v45, v45, v79, -v101
	v_fma_f16 v51, v43, v80, -v102
	v_fmac_f16_e32 v76, v56, v80
	v_fma_f16 v43, v38, v81, -v103
	v_fmac_f16_e32 v73, v52, v81
	;; [unrolled: 2-line block ×3, first 2 shown]
	v_fma_f16 v38, v41, v82, -v105
	v_fma_f16 v39, v39, v83, -v106
	;; [unrolled: 1-line block ×3, first 2 shown]
	v_fmac_f16_e32 v70, v49, v84
	v_fma_f16 v37, v37, v91, -v93
	v_fmac_f16_e32 v68, v50, v91
	v_fmac_f16_e32 v64, v46, v86
	v_fma_f16 v49, v32, v88, -v96
	v_fmac_f16_e32 v67, v47, v88
	v_fma_f16 v46, v1, v92, -v98
	v_fmac_f16_e32 v65, v2, v92
	v_fmac_f16_e32 v77, v58, v79
	;; [unrolled: 1-line block ×3, first 2 shown]
	v_fma_f16 v36, v40, v85, -v108
	v_fmac_f16_e32 v71, v54, v85
	v_fma_f16 v44, v28, v86, -v94
	v_fma_f16 v0, v0, v87, -v95
	v_fmac_f16_e32 v66, v3, v87
	v_fma_f16 v3, v33, v89, -v97
	v_fmac_f16_e32 v63, v48, v89
	v_add_f16_e32 v1, v24, v45
	v_add_f16_e32 v2, v45, v43
	;; [unrolled: 1-line block ×11, first 2 shown]
	v_fmac_f16_e32 v72, v53, v83
	v_sub_f16_e32 v28, v77, v73
	v_sub_f16_e32 v40, v76, v74
	;; [unrolled: 1-line block ×3, first 2 shown]
	v_add_f16_e32 v50, v39, v36
	v_sub_f16_e32 v56, v70, v68
	v_sub_f16_e32 v58, v41, v37
	v_add_f16_e32 v78, v0, v3
	v_sub_f16_e32 v81, v67, v65
	v_sub_f16_e32 v83, v49, v46
	v_add_f16_e32 v84, v1, v43
	v_fmac_f16_e32 v24, -0.5, v2
	v_add_f16_e32 v52, v32, v52
	v_fmac_f16_e32 v42, -0.5, v33
	v_fma_f16 v41, -0.5, v47, v75
	v_add_f16_e32 v33, v48, v36
	v_add_f16_e32 v54, v54, v37
	v_fmac_f16_e32 v38, -0.5, v55
	v_fma_f16 v32, -0.5, v57, v69
	v_fma_f16 v1, -0.5, v80, v44
	;; [unrolled: 1-line block ×3, first 2 shown]
	v_sub_f16_e32 v53, v72, v71
	v_sub_f16_e32 v79, v66, v63
	v_fmac_f16_e32 v25, -0.5, v50
	v_fma_f16 v50, -0.5, v78, v27
	v_fmamk_f16 v55, v28, 0x3aee, v24
	v_fmac_f16_e32 v24, 0xbaee, v28
	v_fmamk_f16 v48, v40, 0x3aee, v42
	v_fmac_f16_e32 v42, 0xbaee, v40
	v_fmamk_f16 v47, v51, 0xbaee, v41
	v_fmamk_f16 v40, v56, 0x3aee, v38
	v_fmac_f16_e32 v38, 0xbaee, v56
	v_fmamk_f16 v37, v58, 0xbaee, v32
	v_add_f16_e32 v56, v33, v54
	v_sub_f16_e32 v54, v33, v54
	v_fmamk_f16 v33, v81, 0x3aee, v1
	v_fmac_f16_e32 v1, 0xbaee, v81
	v_fmamk_f16 v28, v83, 0xbaee, v2
	v_fmac_f16_e32 v41, 0x3aee, v51
	v_add_f16_e32 v57, v84, v52
	v_sub_f16_e32 v78, v84, v52
	v_fmamk_f16 v80, v53, 0x3aee, v25
	v_fmac_f16_e32 v25, 0xbaee, v53
	v_fmac_f16_e32 v32, 0x3aee, v58
	v_fmamk_f16 v51, v79, 0x3aee, v50
	v_fmac_f16_e32 v50, 0xbaee, v79
	v_fmac_f16_e32 v2, 0x3aee, v83
	v_mul_f16_e32 v58, 0x3aee, v47
	v_mul_f16_e32 v79, -0.5, v42
	v_mul_f16_e32 v81, 0x3aee, v37
	v_mul_f16_e32 v82, -0.5, v38
	;; [unrolled: 2-line block ×3, first 2 shown]
	v_fmac_f16_e32 v58, 0.5, v48
	v_fmac_f16_e32 v79, 0x3aee, v41
	v_fmac_f16_e32 v81, 0.5, v40
	v_fmac_f16_e32 v82, 0x3aee, v32
	;; [unrolled: 2-line block ×3, first 2 shown]
	v_add_f16_e32 v83, v55, v58
	v_add_f16_e32 v84, v24, v79
	v_sub_f16_e32 v55, v55, v58
	v_sub_f16_e32 v58, v24, v79
	v_add_f16_e32 v79, v80, v81
	v_add_f16_e32 v85, v25, v82
	v_sub_f16_e32 v80, v80, v81
	v_sub_f16_e32 v81, v25, v82
	;; [unrolled: 1-line block ×4, first 2 shown]
	ds_store_b16 v62, v57
	ds_store_b16 v62, v83 offset:6
	ds_store_b16 v62, v84 offset:12
	;; [unrolled: 1-line block ×5, first 2 shown]
	ds_store_b16 v61, v56
	ds_store_b16 v61, v79 offset:6
	ds_store_b16 v61, v85 offset:12
	;; [unrolled: 1-line block ×5, first 2 shown]
	s_and_saveexec_b32 s2, s1
	s_cbranch_execz .LBB0_25
; %bb.24:
	v_add_f16_e32 v27, v27, v0
	v_add_f16_e32 v44, v44, v49
	v_mul_u32_u24_e32 v49, 36, v60
	v_add_f16_e32 v51, v51, v52
	v_add_f16_e32 v50, v50, v53
	;; [unrolled: 1-line block ×4, first 2 shown]
	v_add3_u32 v46, 0, v49, v59
	s_delay_alu instid0(VALU_DEP_2)
	v_add_f16_e32 v49, v27, v44
	v_sub_f16_e32 v27, v27, v44
	ds_store_b16 v46, v49
	ds_store_b16 v46, v51 offset:6
	ds_store_b16 v46, v50 offset:12
	;; [unrolled: 1-line block ×5, first 2 shown]
.LBB0_25:
	s_wait_alu 0xfffe
	s_or_b32 exec_lo, exec_lo, s2
	v_add_f16_e32 v27, v77, v73
	v_add_f16_e32 v44, v35, v77
	v_sub_f16_e32 v43, v45, v43
	v_add_f16_e32 v45, v75, v76
	v_sub_f16_e32 v36, v39, v36
	v_fmac_f16_e32 v35, -0.5, v27
	v_mul_f16_e32 v27, -0.5, v41
	v_add_f16_e32 v41, v44, v73
	v_add_f16_e32 v44, v45, v74
	v_mul_f16_e32 v40, 0xbaee, v40
	v_fmamk_f16 v45, v43, 0xbaee, v35
	v_fmac_f16_e32 v27, 0xbaee, v42
	v_add_f16_e32 v42, v72, v71
	v_fmac_f16_e32 v35, 0x3aee, v43
	v_add_f16_e32 v43, v34, v72
	v_add_f16_e32 v54, v41, v44
	v_sub_f16_e32 v57, v41, v44
	v_fmac_f16_e32 v34, -0.5, v42
	v_add_f16_e32 v41, v69, v70
	v_mul_f16_e32 v46, 0xbaee, v48
	v_mul_f16_e32 v69, -0.5, v32
	v_fmac_f16_e32 v40, 0.5, v37
	v_fmamk_f16 v32, v36, 0xbaee, v34
	v_add_f16_e32 v39, v43, v71
	v_fmac_f16_e32 v34, 0x3aee, v36
	v_add_f16_e32 v36, v41, v68
	v_fmac_f16_e32 v46, 0.5, v47
	v_add_f16_e32 v37, v66, v63
	v_add_f16_e32 v71, v32, v40
	v_sub_f16_e32 v74, v32, v40
	v_lshl_add_u32 v40, v22, 1, 0
	v_add_f16_e32 v70, v39, v36
	v_sub_f16_e32 v73, v39, v36
	v_lshl_add_u32 v36, v23, 1, 0
	v_add_f16_e32 v56, v35, v27
	v_sub_f16_e32 v68, v35, v27
	v_sub_f16_e32 v27, v0, v3
	v_mul_f16_e32 v0, 0xbaee, v33
	v_lshl_add_u32 v33, v6, 1, 0
	v_add_f16_e32 v55, v45, v46
	v_sub_f16_e32 v58, v45, v46
	v_fmac_f16_e32 v69, 0xbaee, v38
	v_fma_f16 v53, -0.5, v37, v30
	global_wb scope:SCOPE_SE
	s_wait_dscnt 0x0
	s_barrier_signal -1
	s_barrier_wait -1
	global_inv scope:SCOPE_SE
	v_lshl_add_u32 v37, v21, 1, 0
	ds_load_u16 v50, v40
	ds_load_u16 v46, v36
	;; [unrolled: 1-line block ×3, first 2 shown]
	ds_load_u16 v47, v33 offset:540
	ds_load_u16 v32, v26
	ds_load_u16 v48, v26 offset:648
	ds_load_u16 v45, v26 offset:756
	;; [unrolled: 1-line block ×9, first 2 shown]
	ds_load_u16 v52, v37
	ds_load_u16 v38, v26 offset:1620
	v_mul_f16_e32 v2, -0.5, v2
	v_fmamk_f16 v3, v27, 0xbaee, v53
	v_fmac_f16_e32 v53, 0x3aee, v27
	v_fmac_f16_e32 v0, 0.5, v28
	v_add_f16_e32 v72, v34, v69
	v_fmac_f16_e32 v2, 0xbaee, v1
	v_sub_f16_e32 v1, v34, v69
	global_wb scope:SCOPE_SE
	s_wait_dscnt 0x0
	v_sub_f16_e32 v27, v3, v0
	s_barrier_signal -1
	v_sub_f16_e32 v28, v53, v2
	s_barrier_wait -1
	global_inv scope:SCOPE_SE
	ds_store_b16 v62, v54
	ds_store_b16 v62, v55 offset:6
	ds_store_b16 v62, v56 offset:12
	;; [unrolled: 1-line block ×5, first 2 shown]
	ds_store_b16 v61, v70
	ds_store_b16 v61, v71 offset:6
	ds_store_b16 v61, v72 offset:12
	;; [unrolled: 1-line block ×5, first 2 shown]
	s_and_saveexec_b32 s2, s1
	s_cbranch_execz .LBB0_27
; %bb.26:
	v_add_f16_e32 v1, v30, v66
	v_add_f16_e32 v30, v64, v67
	v_mul_u32_u24_e32 v34, 36, v60
	v_add_f16_e32 v0, v3, v0
	v_add_f16_e32 v2, v53, v2
	;; [unrolled: 1-line block ×4, first 2 shown]
	v_add3_u32 v34, 0, v34, v59
	s_delay_alu instid0(VALU_DEP_2)
	v_add_f16_e32 v54, v1, v30
	v_sub_f16_e32 v1, v1, v30
	ds_store_b16 v34, v54
	ds_store_b16 v34, v0 offset:6
	ds_store_b16 v34, v2 offset:12
	;; [unrolled: 1-line block ×5, first 2 shown]
.LBB0_27:
	s_wait_alu 0xfffe
	s_or_b32 exec_lo, exec_lo, s2
	v_mul_lo_u16 v0, v31, 57
	global_wb scope:SCOPE_SE
	s_wait_dscnt 0x0
	s_barrier_signal -1
	s_barrier_wait -1
	global_inv scope:SCOPE_SE
	v_lshrrev_b16 v30, 10, v0
	s_delay_alu instid0(VALU_DEP_1) | instskip(SKIP_1) | instid1(VALU_DEP_2)
	v_mul_lo_u16 v0, v30, 18
	v_and_b32_e32 v30, 0xffff, v30
	v_sub_nc_u16 v0, v6, v0
	s_delay_alu instid0(VALU_DEP_2) | instskip(NEXT) | instid1(VALU_DEP_2)
	v_mul_u32_u24_e32 v30, 0x120, v30
	v_and_b32_e32 v31, 0xff, v0
	s_delay_alu instid0(VALU_DEP_1) | instskip(NEXT) | instid1(VALU_DEP_3)
	v_mul_u32_u24_e32 v0, 15, v31
	v_or_b32_e32 v30, v30, v31
	s_delay_alu instid0(VALU_DEP_2) | instskip(NEXT) | instid1(VALU_DEP_2)
	v_lshlrev_b32_e32 v34, 2, v0
	v_lshl_add_u32 v53, v30, 1, 0
	s_clause 0x3
	global_load_b128 v[58:61], v34, s[4:5] offset:60
	global_load_b128 v[0:3], v34, s[4:5] offset:76
	;; [unrolled: 1-line block ×3, first 2 shown]
	global_load_b96 v[66:68], v34, s[4:5] offset:108
	ds_load_u16 v34, v40
	ds_load_u16 v69, v36
	;; [unrolled: 1-line block ×3, first 2 shown]
	ds_load_u16 v71, v33 offset:540
	ds_load_u16 v54, v26
	ds_load_u16 v72, v26 offset:648
	ds_load_u16 v73, v26 offset:756
	;; [unrolled: 1-line block ×9, first 2 shown]
	ds_load_u16 v79, v37
	ds_load_u16 v80, v26 offset:1620
	global_wb scope:SCOPE_SE
	s_wait_loadcnt_dscnt 0x0
	s_barrier_signal -1
	s_barrier_wait -1
	global_inv scope:SCOPE_SE
	v_lshrrev_b32_e32 v30, 16, v58
	v_lshrrev_b32_e32 v57, 16, v59
	;; [unrolled: 1-line block ×15, first 2 shown]
	v_mul_f16_e32 v93, v70, v30
	v_mul_f16_e32 v30, v51, v30
	;; [unrolled: 1-line block ×29, first 2 shown]
	v_fma_f16 v51, v51, v58, -v93
	v_fmac_f16_e32 v30, v70, v58
	v_fma_f16 v58, v52, v59, -v94
	v_fmac_f16_e32 v95, v79, v59
	;; [unrolled: 2-line block ×7, first 2 shown]
	v_fma_f16 v2, v49, v3, -v100
	v_fma_f16 v44, v44, v62, -v101
	v_fmac_f16_e32 v86, v74, v62
	v_fma_f16 v43, v43, v63, -v102
	v_fmac_f16_e32 v87, v75, v63
	v_fma_f16 v42, v42, v64, -v103
	v_fma_f16 v41, v41, v65, -v104
	v_fmac_f16_e32 v89, v77, v65
	v_fma_f16 v39, v39, v66, -v105
	v_fmac_f16_e32 v90, v31, v66
	;; [unrolled: 2-line block ×4, first 2 shown]
	v_fmac_f16_e32 v88, v76, v64
	v_sub_f16_e32 v2, v32, v2
	v_sub_f16_e32 v52, v34, v41
	;; [unrolled: 1-line block ×15, first 2 shown]
	v_fma_f16 v32, v32, 2.0, -v2
	v_fma_f16 v34, v34, 2.0, -v52
	;; [unrolled: 1-line block ×11, first 2 shown]
	v_sub_f16_e32 v68, v2, v59
	v_sub_f16_e32 v69, v38, v43
	v_add_f16_e32 v70, v41, v31
	v_sub_f16_e32 v31, v44, v47
	v_add_f16_e32 v39, v45, v39
	v_sub_f16_e32 v43, v42, v60
	v_fma_f16 v63, v95, 2.0, -v41
	v_fma_f16 v64, v81, 2.0, -v48
	;; [unrolled: 1-line block ×3, first 2 shown]
	v_add_f16_e32 v35, v48, v35
	v_sub_f16_e32 v34, v32, v34
	v_fma_f16 v47, v2, 2.0, -v68
	v_sub_f16_e32 v1, v58, v0
	v_fma_f16 v71, v38, 2.0, -v69
	v_fma_f16 v73, v41, 2.0, -v70
	v_sub_f16_e32 v2, v62, v46
	v_sub_f16_e32 v38, v30, v51
	v_fma_f16 v41, v44, 2.0, -v31
	v_fma_f16 v44, v45, 2.0, -v39
	v_sub_f16_e32 v45, v50, v65
	v_fma_f16 v42, v42, 2.0, -v43
	v_sub_f16_e32 v66, v63, v61
	v_sub_f16_e32 v46, v64, v67
	v_fma_f16 v48, v48, 2.0, -v35
	v_fmamk_f16 v72, v69, 0x39a8, v68
	v_fmamk_f16 v0, v43, 0x39a8, v31
	v_fma_f16 v32, v32, 2.0, -v34
	v_fma_f16 v60, v58, 2.0, -v1
	;; [unrolled: 1-line block ×5, first 2 shown]
	v_fmamk_f16 v74, v71, 0xb9a8, v47
	v_fmamk_f16 v50, v42, 0xb9a8, v41
	v_fmamk_f16 v51, v35, 0x39a8, v39
	v_sub_f16_e32 v75, v34, v66
	v_fmac_f16_e32 v72, 0xb9a8, v70
	v_fmamk_f16 v58, v48, 0xb9a8, v44
	v_sub_f16_e32 v77, v2, v46
	v_add_f16_e32 v78, v38, v45
	v_fmac_f16_e32 v0, 0xb9a8, v35
	v_sub_f16_e32 v35, v32, v60
	v_fmac_f16_e32 v74, 0xb9a8, v73
	v_sub_f16_e32 v61, v62, v30
	v_fmac_f16_e32 v50, 0xb9a8, v48
	v_fma_f16 v64, v64, 2.0, -v46
	v_fmac_f16_e32 v51, 0x39a8, v43
	v_fma_f16 v34, v34, 2.0, -v75
	v_fma_f16 v43, v68, 2.0, -v72
	v_fmac_f16_e32 v58, 0x39a8, v42
	v_fma_f16 v79, v2, 2.0, -v77
	v_fma_f16 v80, v38, 2.0, -v78
	;; [unrolled: 1-line block ×7, first 2 shown]
	v_sub_f16_e32 v68, v67, v64
	v_fma_f16 v64, v39, 2.0, -v51
	v_fmamk_f16 v30, v77, 0x39a8, v75
	v_fmamk_f16 v2, v0, 0x3b64, v72
	v_fma_f16 v65, v44, 2.0, -v58
	v_fmamk_f16 v39, v79, 0xb9a8, v34
	v_fmamk_f16 v41, v60, 0xb61f, v43
	;; [unrolled: 1-line block ×4, first 2 shown]
	v_sub_f16_e32 v42, v35, v68
	v_fmac_f16_e32 v30, 0xb9a8, v78
	v_fmac_f16_e32 v2, 0xb61f, v51
	v_sub_f16_e32 v38, v31, v38
	v_fmac_f16_e32 v39, 0xb9a8, v80
	v_fmac_f16_e32 v41, 0xbb64, v64
	;; [unrolled: 1-line block ×4, first 2 shown]
	v_fma_f16 v35, v35, 2.0, -v42
	v_fma_f16 v46, v75, 2.0, -v30
	;; [unrolled: 1-line block ×8, first 2 shown]
	ds_store_b16 v53, v38 offset:288
	ds_store_b16 v53, v45 offset:324
	;; [unrolled: 1-line block ×8, first 2 shown]
	ds_store_b16 v53, v31
	ds_store_b16 v53, v32 offset:36
	ds_store_b16 v53, v34 offset:72
	;; [unrolled: 1-line block ×7, first 2 shown]
	global_wb scope:SCOPE_SE
	s_wait_dscnt 0x0
	s_barrier_signal -1
	s_barrier_wait -1
	global_inv scope:SCOPE_SE
	ds_load_u16 v35, v26 offset:1260
	ds_load_u16 v41, v40
	ds_load_u16 v30, v26
	ds_load_u16 v32, v26 offset:576
	ds_load_u16 v39, v26 offset:684
	;; [unrolled: 1-line block ×6, first 2 shown]
	ds_load_u16 v31, v29
	ds_load_u16 v44, v36
	ds_load_u16 v34, v26 offset:1152
	ds_load_u16 v47, v26 offset:1008
	ds_load_u16 v38, v37
	ds_load_u16 v48, v26 offset:1584
	v_mul_f16_e32 v72, 0x39a8, v71
	v_mul_f16_e32 v75, 0x39a8, v73
	;; [unrolled: 1-line block ×8, first 2 shown]
	s_and_saveexec_b32 s1, s0
	s_cbranch_execz .LBB0_29
; %bb.28:
	ds_load_u16 v24, v26 offset:1116
	ds_load_u16 v2, v33 offset:540
	;; [unrolled: 1-line block ×3, first 2 shown]
.LBB0_29:
	s_wait_alu 0xfffe
	s_or_b32 exec_lo, exec_lo, s1
	v_mul_f16_e32 v49, v49, v56
	v_fma_f16 v56, v67, 2.0, -v68
	global_wb scope:SCOPE_SE
	s_wait_dscnt 0x0
	s_barrier_signal -1
	s_barrier_wait -1
	v_fmac_f16_e32 v49, v55, v3
	v_fma_f16 v55, v63, 2.0, -v66
	global_inv scope:SCOPE_SE
	v_sub_f16_e32 v3, v54, v49
	v_fma_f16 v49, v57, 2.0, -v59
	s_delay_alu instid0(VALU_DEP_2) | instskip(SKIP_1) | instid1(VALU_DEP_2)
	v_fma_f16 v54, v54, 2.0, -v3
	v_add_f16_e32 v52, v3, v52
	v_sub_f16_e32 v49, v54, v49
	s_delay_alu instid0(VALU_DEP_2) | instskip(SKIP_1) | instid1(VALU_DEP_3)
	v_fma_f16 v57, v3, 2.0, -v52
	v_add_f16_e32 v3, v52, v76
	v_fma_f16 v54, v54, 2.0, -v49
	s_delay_alu instid0(VALU_DEP_3) | instskip(NEXT) | instid1(VALU_DEP_3)
	v_sub_f16_e32 v59, v57, v75
	v_add_f16_e32 v63, v74, v3
	v_add_f16_e32 v1, v49, v1
	s_delay_alu instid0(VALU_DEP_4) | instskip(NEXT) | instid1(VALU_DEP_4)
	v_sub_f16_e32 v55, v54, v55
	v_add_f16_e32 v59, v72, v59
	s_delay_alu instid0(VALU_DEP_4) | instskip(NEXT) | instid1(VALU_DEP_4)
	v_fmamk_f16 v3, v51, 0x3b64, v63
	v_fma_f16 v49, v49, 2.0, -v1
	v_fma_f16 v52, v52, 2.0, -v63
	;; [unrolled: 1-line block ×4, first 2 shown]
	v_fmac_f16_e32 v3, 0x361f, v0
	v_sub_f16_e32 v57, v49, v71
	v_fmamk_f16 v64, v64, 0xb61f, v52
	v_fmamk_f16 v58, v58, 0x361f, v59
	;; [unrolled: 1-line block ×3, first 2 shown]
	v_add_f16_e32 v66, v1, v73
	v_sub_f16_e32 v56, v51, v56
	v_add_f16_e32 v57, v69, v57
	v_fmac_f16_e32 v64, 0x3b64, v60
	v_fmac_f16_e32 v0, 0x361f, v62
	v_add_f16_e32 v61, v55, v61
	v_fmac_f16_e32 v58, 0x3b64, v50
	v_add_f16_e32 v66, v70, v66
	v_fma_f16 v51, v51, 2.0, -v56
	v_fma_f16 v54, v54, 2.0, -v0
	;; [unrolled: 1-line block ×8, first 2 shown]
	ds_store_b16 v53, v51
	ds_store_b16 v53, v54 offset:36
	ds_store_b16 v53, v49 offset:72
	;; [unrolled: 1-line block ×15, first 2 shown]
	global_wb scope:SCOPE_SE
	s_wait_dscnt 0x0
	s_barrier_signal -1
	s_barrier_wait -1
	global_inv scope:SCOPE_SE
	ds_load_u16 v50, v26 offset:1260
	ds_load_u16 v52, v40
	ds_load_u16 v40, v26
	ds_load_u16 v49, v26 offset:576
	ds_load_u16 v51, v26 offset:684
	ds_load_u16 v53, v26 offset:792
	ds_load_u16 v56, v26 offset:900
	ds_load_u16 v54, v26 offset:1368
	ds_load_u16 v57, v26 offset:1476
	ds_load_u16 v29, v29
	ds_load_u16 v55, v36
	ds_load_u16 v36, v26 offset:1152
	ds_load_u16 v58, v26 offset:1008
	ds_load_u16 v37, v37
	ds_load_u16 v59, v26 offset:1584
	s_and_saveexec_b32 s1, s0
	s_cbranch_execz .LBB0_31
; %bb.30:
	ds_load_u16 v27, v26 offset:1116
	ds_load_u16 v3, v33 offset:540
	;; [unrolled: 1-line block ×3, first 2 shown]
.LBB0_31:
	s_wait_alu 0xfffe
	s_or_b32 exec_lo, exec_lo, s1
	s_and_saveexec_b32 s1, vcc_lo
	s_cbranch_execz .LBB0_34
; %bb.32:
	v_dual_mov_b32 v1, 0 :: v_dual_lshlrev_b32 v0, 1, v23
	v_mad_co_u64_u32 v[70:71], null, s8, v18, 0
	v_mad_co_u64_u32 v[72:73], null, s8, v11, 0
	s_delay_alu instid0(VALU_DEP_3)
	v_lshlrev_b64_e32 v[60:61], 2, v[0:1]
	v_lshlrev_b32_e32 v0, 1, v22
	v_mad_co_u64_u32 v[68:69], null, s8, v17, 0
	v_mov_b32_e32 v33, v71
	v_mad_co_u64_u32 v[74:75], null, s8, v15, 0
	v_add_co_u32 v22, vcc_lo, s4, v60
	s_wait_alu 0xfffd
	v_add_co_ci_u32_e32 v23, vcc_lo, s5, v61, vcc_lo
	v_lshlrev_b64_e32 v[60:61], 2, v[0:1]
	v_lshlrev_b32_e32 v0, 1, v21
	v_mad_co_u64_u32 v[76:77], null, s8, v16, 0
	global_load_b64 v[22:23], v[22:23], off offset:1140
	v_mad_co_u64_u32 v[80:81], null, s8, v13, 0
	v_lshlrev_b64_e32 v[62:63], 2, v[0:1]
	v_add_co_u32 v60, vcc_lo, s4, v60
	s_wait_alu 0xfffd
	v_add_co_ci_u32_e32 v61, vcc_lo, s5, v61, vcc_lo
	v_lshlrev_b32_e32 v0, 1, v20
	s_delay_alu instid0(VALU_DEP_4)
	v_add_co_u32 v62, vcc_lo, s4, v62
	s_wait_alu 0xfffd
	v_add_co_ci_u32_e32 v63, vcc_lo, s5, v63, vcc_lo
	global_load_b64 v[60:61], v[60:61], off offset:1140
	v_dual_mov_b32 v26, v69 :: v_dual_mov_b32 v69, v75
	v_mov_b32_e32 v75, v81
	global_load_b64 v[20:21], v[62:63], off offset:1140
	v_lshlrev_b64_e32 v[62:63], 2, v[0:1]
	v_dual_mov_b32 v71, v77 :: v_dual_lshlrev_b32 v0, 1, v6
	v_mad_co_u64_u32 v[66:67], null, s8, v6, 0
	v_mad_co_u64_u32 v[78:79], null, s8, v10, 0
	s_delay_alu instid0(VALU_DEP_3) | instskip(SKIP_4) | instid1(VALU_DEP_4)
	v_lshlrev_b64_e32 v[64:65], 2, v[0:1]
	v_add_co_u32 v62, vcc_lo, s4, v62
	s_wait_alu 0xfffd
	v_add_co_ci_u32_e32 v63, vcc_lo, s5, v63, vcc_lo
	v_mad_co_u64_u32 v[84:85], null, s8, v9, 0
	v_add_co_u32 v64, vcc_lo, s4, v64
	global_load_b64 v[62:63], v[62:63], off offset:1140
	s_wait_alu 0xfffd
	v_add_co_ci_u32_e32 v65, vcc_lo, s5, v65, vcc_lo
	v_mul_hi_u32 v90, 0x38e38e39, v7
	v_mad_co_u64_u32 v[82:83], null, s8, v14, 0
	global_load_b64 v[64:65], v[64:65], off offset:1140
	v_mad_co_u64_u32 v[86:87], null, s8, v8, 0
	v_mad_co_u64_u32 v[88:89], null, s8, v12, 0
	v_dual_mov_b32 v0, v67 :: v_dual_mov_b32 v67, v73
	v_mov_b32_e32 v73, v79
	v_mov_b32_e32 v79, v85
	v_lshrrev_b32_e32 v85, 6, v90
	v_mov_b32_e32 v77, v83
	v_mov_b32_e32 v81, v87
	;; [unrolled: 1-line block ×3, first 2 shown]
	v_mad_co_u64_u32 v[89:90], null, s9, v6, v[0:1]
	s_wait_dscnt 0x2
	v_mad_co_u64_u32 v[90:91], null, s9, v17, v[26:27]
	v_mad_u32_u24 v26, 0x240, v85, v7
	v_mad_co_u64_u32 v[91:92], null, s9, v11, v[67:68]
	v_mad_co_u64_u32 v[92:93], null, s9, v15, v[69:70]
	;; [unrolled: 1-line block ×9, first 2 shown]
	v_add_nc_u32_e32 v33, 0x120, v26
	v_add_nc_u32_e32 v95, 0x240, v26
	v_mov_b32_e32 v67, v89
	v_mov_b32_e32 v87, v7
	;; [unrolled: 1-line block ×3, first 2 shown]
	v_mad_co_u64_u32 v[7:8], null, s8, v33, 0
	v_mov_b32_e32 v0, v12
	v_mad_co_u64_u32 v[13:14], null, s9, v14, v[77:78]
	v_mov_b32_e32 v79, v10
	;; [unrolled: 2-line block ×3, first 2 shown]
	v_mov_b32_e32 v85, v94
	v_mad_co_u64_u32 v[15:16], null, s9, v16, v[71:72]
	v_mov_b32_e32 v69, v90
	v_mov_b32_e32 v75, v92
	;; [unrolled: 1-line block ×4, first 2 shown]
	v_lshlrev_b64_e32 v[13:14], 2, v[66:67]
	v_lshlrev_b64_e32 v[66:67], 2, v[72:73]
	;; [unrolled: 1-line block ×4, first 2 shown]
	v_mad_co_u64_u32 v[84:85], null, s9, v26, v[0:1]
	v_mov_b32_e32 v0, v8
	v_dual_mov_b32 v8, v10 :: v_dual_mov_b32 v77, v15
	v_lshlrev_b64_e32 v[15:16], 2, v[68:69]
	v_lshlrev_b64_e32 v[68:69], 2, v[74:75]
	;; [unrolled: 1-line block ×4, first 2 shown]
	v_mad_co_u64_u32 v[85:86], null, s9, v33, v[0:1]
	v_mad_co_u64_u32 v[86:87], null, s9, v95, v[8:9]
	v_add_co_u32 v4, vcc_lo, s10, v4
	v_dual_mov_b32 v71, v17 :: v_dual_mov_b32 v12, v84
	s_delay_alu instid0(VALU_DEP_4)
	v_mov_b32_e32 v8, v85
	s_wait_alu 0xfffd
	v_add_co_ci_u32_e32 v5, vcc_lo, s11, v5, vcc_lo
	v_mov_b32_e32 v10, v86
	v_lshlrev_b64_e32 v[17:18], 2, v[70:71]
	v_add_co_u32 v13, vcc_lo, v4, v13
	s_wait_alu 0xfffd
	v_add_co_ci_u32_e32 v14, vcc_lo, v5, v14, vcc_lo
	v_add_co_u32 v15, vcc_lo, v4, v15
	v_lshlrev_b64_e32 v[70:71], 2, v[76:77]
	v_lshlrev_b64_e32 v[76:77], 2, v[82:83]
	;; [unrolled: 1-line block ×3, first 2 shown]
	s_wait_alu 0xfffd
	v_add_co_ci_u32_e32 v16, vcc_lo, v5, v16, vcc_lo
	v_add_co_u32 v17, vcc_lo, v4, v17
	s_wait_alu 0xfffd
	v_add_co_ci_u32_e32 v18, vcc_lo, v5, v18, vcc_lo
	v_add_co_u32 v66, vcc_lo, v4, v66
	;; [unrolled: 3-line block ×9, first 2 shown]
	v_lshlrev_b64_e32 v[11:12], 2, v[11:12]
	s_wait_alu 0xfffd
	v_add_co_ci_u32_e32 v81, vcc_lo, v5, v81, vcc_lo
	v_add_co_u32 v82, vcc_lo, v4, v82
	v_lshlrev_b64_e32 v[7:8], 2, v[7:8]
	s_wait_alu 0xfffd
	v_add_co_ci_u32_e32 v83, vcc_lo, v5, v83, vcc_lo
	v_lshlrev_b64_e32 v[9:10], 2, v[9:10]
	v_add_co_u32 v11, vcc_lo, v4, v11
	s_wait_alu 0xfffd
	v_add_co_ci_u32_e32 v12, vcc_lo, v5, v12, vcc_lo
	v_add_co_u32 v7, vcc_lo, v4, v7
	s_wait_alu 0xfffd
	v_add_co_ci_u32_e32 v8, vcc_lo, v5, v8, vcc_lo
	;; [unrolled: 3-line block ×3, first 2 shown]
	s_wait_loadcnt 0x4
	v_lshrrev_b32_e32 v0, 16, v22
	v_lshrrev_b32_e32 v26, 16, v23
	s_delay_alu instid0(VALU_DEP_2) | instskip(SKIP_1) | instid1(VALU_DEP_2)
	v_mul_f16_e32 v33, v58, v0
	s_wait_dscnt 0x0
	v_mul_f16_e32 v84, v59, v26
	v_mul_f16_e32 v0, v47, v0
	;; [unrolled: 1-line block ×3, first 2 shown]
	v_fma_f16 v33, v47, v22, -v33
	s_delay_alu instid0(VALU_DEP_4) | instskip(NEXT) | instid1(VALU_DEP_4)
	v_fma_f16 v47, v48, v23, -v84
	v_fmac_f16_e32 v0, v58, v22
	s_wait_loadcnt 0x3
	v_lshrrev_b32_e32 v85, 16, v60
	v_lshrrev_b32_e32 v86, 16, v61
	v_fmac_f16_e32 v26, v59, v23
	v_add_f16_e32 v87, v33, v47
	s_wait_loadcnt 0x2
	v_lshrrev_b32_e32 v59, 16, v20
	v_mul_f16_e32 v22, v56, v85
	v_mul_f16_e32 v23, v57, v86
	;; [unrolled: 1-line block ×4, first 2 shown]
	v_lshrrev_b32_e32 v84, 16, v21
	v_sub_f16_e32 v85, v33, v47
	v_add_f16_e32 v86, v0, v26
	v_sub_f16_e32 v88, v0, v26
	v_add_f16_e32 v0, v55, v0
	v_add_f16_e32 v33, v44, v33
	v_fma_f16 v22, v45, v60, -v22
	v_fma_f16 v23, v46, v61, -v23
	v_fmac_f16_e32 v48, v56, v60
	v_fmac_f16_e32 v58, v57, v61
	v_mul_f16_e32 v45, v53, v59
	v_mul_f16_e32 v46, v54, v84
	;; [unrolled: 1-line block ×4, first 2 shown]
	s_wait_loadcnt 0x1
	v_lshrrev_b32_e32 v59, 16, v62
	v_lshrrev_b32_e32 v60, 16, v63
	v_add_f16_e32 v0, v0, v26
	v_add_f16_e32 v26, v33, v47
	;; [unrolled: 1-line block ×4, first 2 shown]
	v_sub_f16_e32 v84, v48, v58
	v_add_f16_e32 v48, v52, v48
	v_fma_f16 v42, v42, v20, -v45
	v_fma_f16 v43, v43, v21, -v46
	v_fmac_f16_e32 v56, v53, v20
	v_fmac_f16_e32 v57, v54, v21
	v_mul_f16_e32 v20, v51, v59
	v_mul_f16_e32 v21, v50, v60
	;; [unrolled: 1-line block ×4, first 2 shown]
	s_wait_loadcnt 0x0
	v_lshrrev_b32_e32 v53, 16, v64
	v_lshrrev_b32_e32 v54, 16, v65
	v_sub_f16_e32 v33, v22, v23
	v_add_f16_e32 v22, v41, v22
	v_fma_f16 v47, -0.5, v47, v52
	v_fma_f16 v41, -0.5, v61, v41
	v_add_f16_e32 v48, v48, v58
	v_add_f16_e32 v52, v56, v57
	;; [unrolled: 1-line block ×3, first 2 shown]
	v_sub_f16_e32 v61, v56, v57
	v_add_f16_e32 v56, v37, v56
	v_fma_f16 v20, v39, v62, -v20
	v_fma_f16 v21, v35, v63, -v21
	v_fmac_f16_e32 v45, v51, v62
	v_fmac_f16_e32 v46, v50, v63
	v_mul_f16_e32 v35, v49, v53
	v_mul_f16_e32 v39, v36, v54
	;; [unrolled: 1-line block ×4, first 2 shown]
	v_add_f16_e32 v22, v22, v23
	v_sub_f16_e32 v23, v42, v43
	v_add_f16_e32 v42, v38, v42
	v_pack_b32_f16 v0, v26, v0
	v_fmamk_f16 v26, v33, 0x3aee, v47
	v_fmac_f16_e32 v47, 0xbaee, v33
	v_fma_f16 v33, -0.5, v52, v37
	v_fma_f16 v37, -0.5, v58, v38
	v_add_f16_e32 v38, v56, v57
	v_add_f16_e32 v52, v45, v46
	;; [unrolled: 1-line block ×3, first 2 shown]
	v_sub_f16_e32 v56, v45, v46
	v_add_f16_e32 v45, v29, v45
	v_fma_f16 v32, v32, v64, -v35
	v_fma_f16 v34, v34, v65, -v39
	v_fmac_f16_e32 v50, v49, v64
	v_fmac_f16_e32 v51, v36, v65
	v_add_f16_e32 v42, v42, v43
	v_sub_f16_e32 v43, v20, v21
	v_add_f16_e32 v20, v31, v20
	v_fmamk_f16 v39, v23, 0x3aee, v33
	v_fmac_f16_e32 v33, 0xbaee, v23
	v_fma_f16 v23, -0.5, v52, v29
	v_fma_f16 v29, -0.5, v54, v31
	v_add_f16_e32 v31, v45, v46
	v_add_f16_e32 v45, v50, v51
	;; [unrolled: 1-line block ×3, first 2 shown]
	v_fma_f16 v55, -0.5, v86, v55
	v_fma_f16 v44, -0.5, v87, v44
	v_add_f16_e32 v20, v20, v21
	v_sub_f16_e32 v21, v32, v34
	v_add_f16_e32 v49, v40, v50
	v_add_f16_e32 v32, v30, v32
	v_pack_b32_f16 v22, v22, v48
	v_sub_f16_e32 v48, v50, v51
	v_fma_f16 v40, -0.5, v45, v40
	v_fma_f16 v30, -0.5, v46, v30
	v_fmamk_f16 v59, v85, 0x3aee, v55
	v_fmamk_f16 v60, v88, 0xbaee, v44
	v_fmac_f16_e32 v55, 0xbaee, v85
	v_fmac_f16_e32 v44, 0x3aee, v88
	v_fmamk_f16 v53, v84, 0xbaee, v41
	v_fmac_f16_e32 v41, 0x3aee, v84
	v_pack_b32_f16 v38, v42, v38
	v_fmamk_f16 v42, v43, 0x3aee, v23
	v_fmac_f16_e32 v23, 0xbaee, v43
	v_add_f16_e32 v43, v49, v51
	v_add_f16_e32 v32, v32, v34
	v_fmamk_f16 v34, v21, 0x3aee, v40
	v_fmamk_f16 v45, v48, 0xbaee, v30
	v_fmac_f16_e32 v40, 0xbaee, v21
	v_fmac_f16_e32 v30, 0x3aee, v48
	v_pack_b32_f16 v35, v44, v55
	v_fmamk_f16 v44, v61, 0xbaee, v37
	v_fmac_f16_e32 v37, 0x3aee, v61
	v_pack_b32_f16 v41, v41, v47
	v_fmamk_f16 v47, v56, 0xbaee, v29
	v_fmac_f16_e32 v29, 0x3aee, v56
	v_pack_b32_f16 v32, v32, v43
	v_pack_b32_f16 v30, v30, v40
	;; [unrolled: 1-line block ×10, first 2 shown]
	s_clause 0xe
	global_store_b32 v[13:14], v32, off
	global_store_b32 v[15:16], v30, off
	;; [unrolled: 1-line block ×15, first 2 shown]
	s_and_b32 exec_lo, exec_lo, s0
	s_cbranch_execz .LBB0_34
; %bb.33:
	v_add_nc_u32_e32 v14, 0x22e, v6
	v_subrev_nc_u32_e32 v0, 18, v6
	v_add_nc_u32_e32 v15, 0x34e, v6
	v_mad_co_u64_u32 v[6:7], null, s8, v19, 0
	s_delay_alu instid0(VALU_DEP_4) | instskip(NEXT) | instid1(VALU_DEP_4)
	v_mad_co_u64_u32 v[8:9], null, s8, v14, 0
	v_cndmask_b32_e64 v0, v0, v19, s0
	s_delay_alu instid0(VALU_DEP_4) | instskip(NEXT) | instid1(VALU_DEP_3)
	v_mad_co_u64_u32 v[10:11], null, s8, v15, 0
	v_mad_co_u64_u32 v[12:13], null, s9, v19, v[7:8]
	s_delay_alu instid0(VALU_DEP_3) | instskip(NEXT) | instid1(VALU_DEP_3)
	v_lshlrev_b32_e32 v0, 1, v0
	v_mad_co_u64_u32 v[13:14], null, s9, v14, v[9:10]
	s_delay_alu instid0(VALU_DEP_3) | instskip(NEXT) | instid1(VALU_DEP_3)
	v_mov_b32_e32 v7, v12
	v_lshlrev_b64_e32 v[0:1], 2, v[0:1]
	v_mad_co_u64_u32 v[14:15], null, s9, v15, v[11:12]
	s_delay_alu instid0(VALU_DEP_4) | instskip(NEXT) | instid1(VALU_DEP_4)
	v_mov_b32_e32 v9, v13
	v_lshlrev_b64_e32 v[6:7], 2, v[6:7]
	s_delay_alu instid0(VALU_DEP_4)
	v_add_co_u32 v0, vcc_lo, s4, v0
	s_wait_alu 0xfffd
	v_add_co_ci_u32_e32 v1, vcc_lo, s5, v1, vcc_lo
	v_mov_b32_e32 v11, v14
	v_lshlrev_b64_e32 v[8:9], 2, v[8:9]
	v_add_co_u32 v6, vcc_lo, v4, v6
	global_load_b64 v[0:1], v[0:1], off offset:1140
	s_wait_alu 0xfffd
	v_add_co_ci_u32_e32 v7, vcc_lo, v5, v7, vcc_lo
	v_lshlrev_b64_e32 v[10:11], 2, v[10:11]
	s_wait_loadcnt 0x0
	v_lshrrev_b32_e32 v12, 16, v0
	v_lshrrev_b32_e32 v13, 16, v1
	s_delay_alu instid0(VALU_DEP_2) | instskip(SKIP_1) | instid1(VALU_DEP_3)
	v_mul_f16_e32 v14, v27, v12
	v_mul_f16_e32 v12, v24, v12
	;; [unrolled: 1-line block ×4, first 2 shown]
	s_delay_alu instid0(VALU_DEP_4) | instskip(NEXT) | instid1(VALU_DEP_4)
	v_fma_f16 v14, v24, v0, -v14
	v_fmac_f16_e32 v12, v27, v0
	s_delay_alu instid0(VALU_DEP_4) | instskip(NEXT) | instid1(VALU_DEP_4)
	v_fma_f16 v15, v25, v1, -v15
	v_fmac_f16_e32 v13, v28, v1
	v_add_co_u32 v0, vcc_lo, v4, v8
	s_wait_alu 0xfffd
	v_add_co_ci_u32_e32 v1, vcc_lo, v5, v9, vcc_lo
	v_add_f16_e32 v8, v14, v15
	v_add_f16_e32 v16, v12, v13
	;; [unrolled: 1-line block ×3, first 2 shown]
	v_sub_f16_e32 v17, v12, v13
	v_add_f16_e32 v12, v3, v12
	v_fmac_f16_e32 v2, -0.5, v8
	v_sub_f16_e32 v8, v14, v15
	v_fmac_f16_e32 v3, -0.5, v16
	v_add_f16_e32 v9, v9, v15
	v_add_f16_e32 v12, v12, v13
	v_fmamk_f16 v13, v17, 0x3aee, v2
	v_fmac_f16_e32 v2, 0xbaee, v17
	v_fmamk_f16 v14, v8, 0xbaee, v3
	v_fmac_f16_e32 v3, 0x3aee, v8
	v_add_co_u32 v4, vcc_lo, v4, v10
	v_pack_b32_f16 v8, v9, v12
	s_delay_alu instid0(VALU_DEP_4)
	v_pack_b32_f16 v9, v13, v14
	s_wait_alu 0xfffd
	v_add_co_ci_u32_e32 v5, vcc_lo, v5, v11, vcc_lo
	v_pack_b32_f16 v2, v2, v3
	s_clause 0x2
	global_store_b32 v[6:7], v8, off
	global_store_b32 v[0:1], v9, off
	;; [unrolled: 1-line block ×3, first 2 shown]
.LBB0_34:
	s_nop 0
	s_sendmsg sendmsg(MSG_DEALLOC_VGPRS)
	s_endpgm
	.section	.rodata,"a",@progbits
	.p2align	6, 0x0
	.amdhsa_kernel fft_rtc_fwd_len864_factors_3_6_16_3_wgs_54_tpt_54_halfLds_half_ip_CI_sbrr_dirReg
		.amdhsa_group_segment_fixed_size 0
		.amdhsa_private_segment_fixed_size 0
		.amdhsa_kernarg_size 88
		.amdhsa_user_sgpr_count 2
		.amdhsa_user_sgpr_dispatch_ptr 0
		.amdhsa_user_sgpr_queue_ptr 0
		.amdhsa_user_sgpr_kernarg_segment_ptr 1
		.amdhsa_user_sgpr_dispatch_id 0
		.amdhsa_user_sgpr_private_segment_size 0
		.amdhsa_wavefront_size32 1
		.amdhsa_uses_dynamic_stack 0
		.amdhsa_enable_private_segment 0
		.amdhsa_system_sgpr_workgroup_id_x 1
		.amdhsa_system_sgpr_workgroup_id_y 0
		.amdhsa_system_sgpr_workgroup_id_z 0
		.amdhsa_system_sgpr_workgroup_info 0
		.amdhsa_system_vgpr_workitem_id 0
		.amdhsa_next_free_vgpr 109
		.amdhsa_next_free_sgpr 35
		.amdhsa_reserve_vcc 1
		.amdhsa_float_round_mode_32 0
		.amdhsa_float_round_mode_16_64 0
		.amdhsa_float_denorm_mode_32 3
		.amdhsa_float_denorm_mode_16_64 3
		.amdhsa_fp16_overflow 0
		.amdhsa_workgroup_processor_mode 1
		.amdhsa_memory_ordered 1
		.amdhsa_forward_progress 0
		.amdhsa_round_robin_scheduling 0
		.amdhsa_exception_fp_ieee_invalid_op 0
		.amdhsa_exception_fp_denorm_src 0
		.amdhsa_exception_fp_ieee_div_zero 0
		.amdhsa_exception_fp_ieee_overflow 0
		.amdhsa_exception_fp_ieee_underflow 0
		.amdhsa_exception_fp_ieee_inexact 0
		.amdhsa_exception_int_div_zero 0
	.end_amdhsa_kernel
	.text
.Lfunc_end0:
	.size	fft_rtc_fwd_len864_factors_3_6_16_3_wgs_54_tpt_54_halfLds_half_ip_CI_sbrr_dirReg, .Lfunc_end0-fft_rtc_fwd_len864_factors_3_6_16_3_wgs_54_tpt_54_halfLds_half_ip_CI_sbrr_dirReg
                                        ; -- End function
	.section	.AMDGPU.csdata,"",@progbits
; Kernel info:
; codeLenInByte = 11004
; NumSgprs: 37
; NumVgprs: 109
; ScratchSize: 0
; MemoryBound: 0
; FloatMode: 240
; IeeeMode: 1
; LDSByteSize: 0 bytes/workgroup (compile time only)
; SGPRBlocks: 4
; VGPRBlocks: 13
; NumSGPRsForWavesPerEU: 37
; NumVGPRsForWavesPerEU: 109
; Occupancy: 12
; WaveLimiterHint : 1
; COMPUTE_PGM_RSRC2:SCRATCH_EN: 0
; COMPUTE_PGM_RSRC2:USER_SGPR: 2
; COMPUTE_PGM_RSRC2:TRAP_HANDLER: 0
; COMPUTE_PGM_RSRC2:TGID_X_EN: 1
; COMPUTE_PGM_RSRC2:TGID_Y_EN: 0
; COMPUTE_PGM_RSRC2:TGID_Z_EN: 0
; COMPUTE_PGM_RSRC2:TIDIG_COMP_CNT: 0
	.text
	.p2alignl 7, 3214868480
	.fill 96, 4, 3214868480
	.type	__hip_cuid_f9c5e118c4f67d88,@object ; @__hip_cuid_f9c5e118c4f67d88
	.section	.bss,"aw",@nobits
	.globl	__hip_cuid_f9c5e118c4f67d88
__hip_cuid_f9c5e118c4f67d88:
	.byte	0                               ; 0x0
	.size	__hip_cuid_f9c5e118c4f67d88, 1

	.ident	"AMD clang version 19.0.0git (https://github.com/RadeonOpenCompute/llvm-project roc-6.4.0 25133 c7fe45cf4b819c5991fe208aaa96edf142730f1d)"
	.section	".note.GNU-stack","",@progbits
	.addrsig
	.addrsig_sym __hip_cuid_f9c5e118c4f67d88
	.amdgpu_metadata
---
amdhsa.kernels:
  - .args:
      - .actual_access:  read_only
        .address_space:  global
        .offset:         0
        .size:           8
        .value_kind:     global_buffer
      - .offset:         8
        .size:           8
        .value_kind:     by_value
      - .actual_access:  read_only
        .address_space:  global
        .offset:         16
        .size:           8
        .value_kind:     global_buffer
      - .actual_access:  read_only
        .address_space:  global
        .offset:         24
        .size:           8
        .value_kind:     global_buffer
      - .offset:         32
        .size:           8
        .value_kind:     by_value
      - .actual_access:  read_only
        .address_space:  global
        .offset:         40
        .size:           8
        .value_kind:     global_buffer
      - .actual_access:  read_only
        .address_space:  global
        .offset:         48
        .size:           8
        .value_kind:     global_buffer
      - .offset:         56
        .size:           4
        .value_kind:     by_value
      - .actual_access:  read_only
        .address_space:  global
        .offset:         64
        .size:           8
        .value_kind:     global_buffer
      - .actual_access:  read_only
        .address_space:  global
        .offset:         72
        .size:           8
        .value_kind:     global_buffer
      - .address_space:  global
        .offset:         80
        .size:           8
        .value_kind:     global_buffer
    .group_segment_fixed_size: 0
    .kernarg_segment_align: 8
    .kernarg_segment_size: 88
    .language:       OpenCL C
    .language_version:
      - 2
      - 0
    .max_flat_workgroup_size: 54
    .name:           fft_rtc_fwd_len864_factors_3_6_16_3_wgs_54_tpt_54_halfLds_half_ip_CI_sbrr_dirReg
    .private_segment_fixed_size: 0
    .sgpr_count:     37
    .sgpr_spill_count: 0
    .symbol:         fft_rtc_fwd_len864_factors_3_6_16_3_wgs_54_tpt_54_halfLds_half_ip_CI_sbrr_dirReg.kd
    .uniform_work_group_size: 1
    .uses_dynamic_stack: false
    .vgpr_count:     109
    .vgpr_spill_count: 0
    .wavefront_size: 32
    .workgroup_processor_mode: 1
amdhsa.target:   amdgcn-amd-amdhsa--gfx1201
amdhsa.version:
  - 1
  - 2
...

	.end_amdgpu_metadata
